;; amdgpu-corpus repo=ROCm/rocFFT kind=compiled arch=gfx906 opt=O3
	.text
	.amdgcn_target "amdgcn-amd-amdhsa--gfx906"
	.amdhsa_code_object_version 6
	.protected	fft_rtc_back_len81_factors_3_3_3_3_wgs_243_tpt_27_dp_op_CI_CI_sbrc_xy_z_unaligned ; -- Begin function fft_rtc_back_len81_factors_3_3_3_3_wgs_243_tpt_27_dp_op_CI_CI_sbrc_xy_z_unaligned
	.globl	fft_rtc_back_len81_factors_3_3_3_3_wgs_243_tpt_27_dp_op_CI_CI_sbrc_xy_z_unaligned
	.p2align	8
	.type	fft_rtc_back_len81_factors_3_3_3_3_wgs_243_tpt_27_dp_op_CI_CI_sbrc_xy_z_unaligned,@function
fft_rtc_back_len81_factors_3_3_3_3_wgs_243_tpt_27_dp_op_CI_CI_sbrc_xy_z_unaligned: ; @fft_rtc_back_len81_factors_3_3_3_3_wgs_243_tpt_27_dp_op_CI_CI_sbrc_xy_z_unaligned
; %bb.0:
	s_load_dwordx4 s[8:11], s[4:5], 0x10
	s_load_dwordx2 s[24:25], s[4:5], 0x20
	s_mov_b32 s7, 0
	s_mov_b32 s13, s7
	s_waitcnt lgkmcnt(0)
	s_load_dwordx4 s[0:3], s[8:9], 0x8
	s_load_dwordx4 s[16:19], s[10:11], 0x0
	s_load_dwordx2 s[20:21], s[10:11], 0x10
	s_waitcnt lgkmcnt(0)
	s_add_i32 s3, s2, -1
	s_mul_hi_u32 s3, s3, 0x38e38e39
	s_lshr_b32 s3, s3, 1
	s_add_i32 s3, s3, 1
	s_mul_i32 s3, s3, s0
	v_cvt_f32_u32_e32 v1, s3
	s_sub_i32 s8, 0, s3
	v_rcp_iflag_f32_e32 v1, v1
	v_mul_f32_e32 v1, 0x4f7ffffe, v1
	v_cvt_u32_f32_e32 v3, v1
	v_mov_b32_e32 v2, s1
	v_mov_b32_e32 v1, s0
	v_readfirstlane_b32 s9, v3
	s_mul_i32 s8, s8, s9
	s_mul_hi_u32 s8, s9, s8
	s_add_i32 s9, s9, s8
	s_mul_hi_u32 s8, s6, s9
	s_mul_i32 s9, s8, s3
	s_sub_i32 s9, s6, s9
	s_add_i32 s12, s8, 1
	s_sub_i32 s14, s9, s3
	s_cmp_ge_u32 s9, s3
	s_cselect_b32 s8, s12, s8
	s_cselect_b32 s9, s14, s9
	s_add_i32 s12, s8, 1
	s_cmp_ge_u32 s9, s3
	s_cselect_b32 s30, s12, s8
	s_mul_i32 s3, s30, s3
	s_sub_i32 s12, s6, s3
	v_cmp_lt_u64_e32 vcc, s[12:13], v[1:2]
	v_cvt_f32_u32_e32 v1, s0
	s_mov_b64 s[8:9], 0
	s_cbranch_vccnz .LBB0_2
; %bb.1:
	v_rcp_iflag_f32_e32 v2, v1
	s_sub_i32 s3, 0, s0
	v_mul_f32_e32 v2, 0x4f7ffffe, v2
	v_cvt_u32_f32_e32 v2, v2
	v_readfirstlane_b32 s8, v2
	s_mul_i32 s3, s3, s8
	s_mul_hi_u32 s3, s8, s3
	s_add_i32 s8, s8, s3
	s_mul_hi_u32 s3, s12, s8
	s_mul_i32 s9, s3, s0
	s_sub_i32 s9, s12, s9
	s_add_i32 s8, s3, 1
	s_sub_i32 s12, s9, s0
	s_cmp_ge_u32 s9, s0
	s_cselect_b32 s3, s8, s3
	s_cselect_b32 s9, s12, s9
	s_add_i32 s8, s3, 1
	s_cmp_ge_u32 s9, s0
	s_cselect_b32 s8, s8, s3
.LBB0_2:
	s_load_dwordx2 s[22:23], s[4:5], 0x58
	v_mov_b32_e32 v3, s1
	v_mov_b32_e32 v2, s0
	v_cmp_lt_u64_e32 vcc, s[6:7], v[2:3]
	s_cbranch_vccnz .LBB0_4
; %bb.3:
	v_rcp_iflag_f32_e32 v1, v1
	s_sub_i32 s1, 0, s0
	v_mul_f32_e32 v1, 0x4f7ffffe, v1
	v_cvt_u32_f32_e32 v1, v1
	v_readfirstlane_b32 s3, v1
	s_mul_i32 s1, s1, s3
	s_mul_hi_u32 s1, s3, s1
	s_add_i32 s3, s3, s1
	s_mul_hi_u32 s1, s6, s3
	s_mul_i32 s1, s1, s0
	s_sub_i32 s1, s6, s1
	s_sub_i32 s3, s1, s0
	s_cmp_ge_u32 s1, s0
	s_cselect_b32 s1, s3, s1
	s_sub_i32 s3, s1, s0
	s_cmp_ge_u32 s1, s0
	s_cselect_b32 s6, s3, s1
.LBB0_4:
	s_load_dwordx4 s[12:15], s[4:5], 0x0
	s_mul_i32 s7, s8, 9
	s_mul_i32 s0, s6, s18
	s_mul_i32 s1, s7, s20
	s_add_i32 s3, s0, s1
	s_waitcnt lgkmcnt(0)
	s_lshl_b64 s[0:1], s[14:15], 3
	s_add_u32 s18, s10, s0
	s_addc_u32 s19, s11, s1
	s_load_dwordx2 s[26:27], s[18:19], 0x0
	s_load_dwordx4 s[8:11], s[24:25], 0x0
	s_load_dwordx2 s[14:15], s[24:25], 0x10
	v_mul_u32_u24_e32 v1, 0x32a, v0
	v_lshrrev_b32_e32 v3, 16, v1
	s_waitcnt lgkmcnt(0)
	s_mul_i32 s11, s27, s30
	s_mul_hi_u32 s15, s26, s30
	s_mul_i32 s18, s26, s30
	s_add_i32 s15, s15, s11
	s_add_u32 s26, s18, s3
	s_addc_u32 s27, s15, 0
	s_add_u32 s0, s24, s0
	s_addc_u32 s1, s25, s1
	s_load_dwordx2 s[0:1], s[0:1], 0x0
	s_add_i32 s3, s7, 9
	s_cmp_le_u32 s3, s2
	s_cselect_b64 s[18:19], -1, 0
	v_mul_lo_u16_e32 v1, 0x51, v3
	v_sub_u16_e32 v4, v0, v1
	s_mov_b64 s[24:25], -1
	s_and_b64 vcc, exec, s[18:19]
	s_cbranch_vccnz .LBB0_9
; %bb.5:
	v_add_u32_e32 v5, s7, v3
	v_cmp_gt_u32_e32 vcc, s2, v5
	s_and_saveexec_b64 s[24:25], vcc
	s_cbranch_execz .LBB0_8
; %bb.6:
	v_mad_u64_u32 v[1:2], s[28:29], s16, v4, 0
	s_lshl_b64 s[28:29], s[26:27], 4
	s_add_u32 s3, s22, s28
	v_mad_u64_u32 v[6:7], s[34:35], s17, v4, v[2:3]
	s_addc_u32 s11, s23, s29
	v_mov_b32_e32 v7, s11
	v_mov_b32_e32 v2, v6
	v_lshlrev_b64 v[1:2], 4, v[1:2]
	s_mul_i32 s11, s20, 3
	v_add_co_u32_e32 v6, vcc, s3, v1
	v_addc_co_u32_e32 v7, vcc, v7, v2, vcc
	v_mul_u32_u24_e32 v1, 0x510, v3
	v_lshlrev_b32_e32 v2, 4, v4
	v_add3_u32 v8, v1, v2, 0
	v_mul_lo_u32 v1, v3, s20
	s_mov_b32 s3, 0
	s_mov_b64 s[28:29], 0
	v_mov_b32_e32 v2, 0
.LBB0_7:                                ; =>This Inner Loop Header: Depth=1
	v_lshlrev_b64 v[9:10], 4, v[1:2]
	s_add_i32 s3, s3, 3
	v_add_co_u32_e32 v9, vcc, v6, v9
	v_addc_co_u32_e32 v10, vcc, v7, v10, vcc
	global_load_dwordx4 v[9:12], v[9:10], off
	v_add_u32_e32 v13, s3, v5
	v_cmp_le_u32_e32 vcc, s2, v13
	v_add_u32_e32 v1, s11, v1
	s_or_b64 s[28:29], vcc, s[28:29]
	s_waitcnt vmcnt(0)
	ds_write_b128 v8, v[9:12]
	v_add_u32_e32 v8, 0xf30, v8
	s_andn2_b64 exec, exec, s[28:29]
	s_cbranch_execnz .LBB0_7
.LBB0_8:
	s_or_b64 exec, exec, s[24:25]
	s_mov_b64 s[24:25], 0
.LBB0_9:
	s_andn2_b64 vcc, exec, s[24:25]
	s_cbranch_vccnz .LBB0_11
; %bb.10:
	v_mad_u64_u32 v[1:2], s[24:25], s16, v4, 0
	v_mul_lo_u32 v13, s20, v3
	v_mov_b32_e32 v14, 0
	v_mad_u64_u32 v[5:6], s[16:17], s17, v4, v[2:3]
	s_lshl_b64 s[16:17], s[26:27], 4
	s_add_u32 s3, s22, s16
	v_mov_b32_e32 v2, v5
	v_lshlrev_b64 v[1:2], 4, v[1:2]
	s_addc_u32 s11, s23, s17
	v_mov_b32_e32 v5, s11
	v_add_co_u32_e32 v17, vcc, s3, v1
	v_addc_co_u32_e32 v18, vcc, v5, v2, vcc
	v_lshlrev_b64 v[1:2], 4, v[13:14]
	s_mul_i32 s3, s20, 3
	v_add_u32_e32 v13, s3, v13
	v_add_co_u32_e32 v1, vcc, v17, v1
	v_lshlrev_b64 v[5:6], 4, v[13:14]
	v_addc_co_u32_e32 v2, vcc, v18, v2, vcc
	v_add_co_u32_e32 v15, vcc, v17, v5
	v_add_u32_e32 v13, s3, v13
	v_addc_co_u32_e32 v16, vcc, v18, v6, vcc
	global_load_dwordx4 v[5:8], v[1:2], off
	global_load_dwordx4 v[9:12], v[15:16], off
	v_lshlrev_b64 v[1:2], 4, v[13:14]
	v_add_co_u32_e32 v1, vcc, v17, v1
	v_addc_co_u32_e32 v2, vcc, v18, v2, vcc
	global_load_dwordx4 v[13:16], v[1:2], off
	v_mul_u32_u24_e32 v1, 0x510, v3
	v_lshlrev_b32_e32 v2, 4, v4
	v_add3_u32 v1, 0, v1, v2
	s_waitcnt vmcnt(2)
	ds_write_b128 v1, v[5:8]
	s_waitcnt vmcnt(1)
	ds_write_b128 v1, v[9:12] offset:3888
	s_waitcnt vmcnt(0)
	ds_write_b128 v1, v[13:16] offset:7776
.LBB0_11:
	s_movk_i32 s3, 0x97c
	v_mul_u32_u24_sdwa v1, v0, s3 dst_sel:DWORD dst_unused:UNUSED_PAD src0_sel:WORD_0 src1_sel:DWORD
	v_add_u32_sdwa v1, s7, v1 dst_sel:DWORD dst_unused:UNUSED_PAD src0_sel:DWORD src1_sel:WORD_1
	s_mov_b32 s3, 0x38e38e39
	v_mul_hi_u32 v2, v1, s3
	s_mov_b32 s3, 0x97b425f
	v_mul_hi_u32 v3, v0, s3
	s_waitcnt lgkmcnt(0)
	v_lshrrev_b32_e32 v2, 1, v2
	v_lshl_add_u32 v2, v2, 3, v2
	v_sub_u32_e32 v1, v1, v2
	v_mul_u32_u24_e32 v2, 27, v3
	v_mul_u32_u24_e32 v1, 0x51, v1
	v_sub_u32_e32 v22, v0, v2
	v_lshlrev_b32_e32 v23, 4, v1
	v_lshlrev_b32_e32 v10, 4, v22
	v_add3_u32 v1, 0, v10, v23
	s_barrier
	ds_read_b128 v[2:5], v1 offset:432
	ds_read_b128 v[6:9], v1 offset:864
	v_add3_u32 v24, 0, v23, v10
	ds_read_b128 v[10:13], v24
	s_mov_b32 s16, 0xe8584caa
	s_mov_b32 s17, 0xbfebb67a
	s_waitcnt lgkmcnt(1)
	v_add_f64 v[14:15], v[2:3], v[6:7]
	v_add_f64 v[16:17], v[4:5], v[8:9]
	s_waitcnt lgkmcnt(0)
	v_add_f64 v[18:19], v[10:11], v[2:3]
	v_add_f64 v[20:21], v[2:3], -v[6:7]
	s_mov_b32 s21, 0x3febb67a
	s_mov_b32 s20, s16
	v_lshlrev_b32_e32 v25, 5, v22
	v_fma_f64 v[10:11], v[14:15], -0.5, v[10:11]
	v_fma_f64 v[14:15], v[16:17], -0.5, v[12:13]
	v_add_f64 v[12:13], v[12:13], v[4:5]
	v_add_f64 v[16:17], v[4:5], -v[8:9]
	v_add_f64 v[2:3], v[18:19], v[6:7]
	s_barrier
	v_mov_b32_e32 v28, 5
	s_movk_i32 s3, 0x90
	v_mov_b32_e32 v29, 4
	v_add_f64 v[4:5], v[12:13], v[8:9]
	v_fma_f64 v[6:7], v[16:17], s[16:17], v[10:11]
	v_fma_f64 v[8:9], v[20:21], s[20:21], v[14:15]
	;; [unrolled: 1-line block ×4, first 2 shown]
	v_add_u32_e32 v14, v1, v25
	ds_write_b128 v14, v[2:5]
	ds_write_b128 v14, v[6:9] offset:16
	ds_write_b128 v14, v[10:13] offset:32
	v_mul_lo_u16_e32 v2, 0x56, v22
	v_lshrrev_b16_e32 v26, 8, v2
	v_mul_lo_u16_e32 v2, 3, v26
	v_sub_u16_e32 v27, v22, v2
	v_lshlrev_b32_sdwa v10, v28, v27 dst_sel:DWORD dst_unused:UNUSED_PAD src0_sel:DWORD src1_sel:BYTE_0
	s_waitcnt lgkmcnt(0)
	s_barrier
	global_load_dwordx4 v[2:5], v10, s[12:13]
	global_load_dwordx4 v[6:9], v10, s[12:13] offset:16
	ds_read_b128 v[10:13], v1 offset:432
	ds_read_b128 v[14:17], v24
	s_waitcnt vmcnt(1) lgkmcnt(1)
	v_mul_f64 v[18:19], v[12:13], v[4:5]
	v_mul_f64 v[4:5], v[10:11], v[4:5]
	v_fma_f64 v[18:19], v[10:11], v[2:3], v[18:19]
	v_fma_f64 v[10:11], v[12:13], v[2:3], -v[4:5]
	ds_read_b128 v[2:5], v1 offset:864
	s_waitcnt vmcnt(0) lgkmcnt(0)
	s_barrier
	v_mul_f64 v[12:13], v[4:5], v[8:9]
	v_fma_f64 v[12:13], v[2:3], v[6:7], v[12:13]
	v_mul_f64 v[2:3], v[2:3], v[8:9]
	v_fma_f64 v[2:3], v[4:5], v[6:7], -v[2:3]
	v_add_f64 v[4:5], v[18:19], v[12:13]
	v_add_f64 v[6:7], v[14:15], v[18:19]
	v_fma_f64 v[8:9], v[4:5], -0.5, v[14:15]
	v_add_f64 v[4:5], v[10:11], v[2:3]
	v_mul_lo_u16_e32 v14, 29, v22
	v_lshrrev_b16_e32 v30, 8, v14
	v_mul_lo_u16_e32 v15, 9, v30
	v_mad_u32_u24 v14, v26, s3, 0
	v_sub_u16_e32 v22, v22, v15
	v_lshlrev_b32_sdwa v15, v29, v27 dst_sel:DWORD dst_unused:UNUSED_PAD src0_sel:DWORD src1_sel:BYTE_0
	v_add3_u32 v14, v14, v15, v23
	v_fma_f64 v[20:21], v[4:5], -0.5, v[16:17]
	v_add_f64 v[4:5], v[16:17], v[10:11]
	v_add_f64 v[10:11], v[10:11], -v[2:3]
	v_lshlrev_b32_sdwa v16, v28, v22 dst_sel:DWORD dst_unused:UNUSED_PAD src0_sel:DWORD src1_sel:BYTE_0
	s_movk_i32 s3, 0x1b0
	v_add_f64 v[4:5], v[4:5], v[2:3]
	v_add_f64 v[2:3], v[6:7], v[12:13]
	v_add_f64 v[12:13], v[18:19], -v[12:13]
	v_fma_f64 v[6:7], v[10:11], s[16:17], v[8:9]
	v_fma_f64 v[10:11], v[10:11], s[20:21], v[8:9]
	;; [unrolled: 1-line block ×4, first 2 shown]
	ds_write_b128 v14, v[2:5]
	ds_write_b128 v14, v[6:9] offset:48
	ds_write_b128 v14, v[10:13] offset:96
	s_waitcnt lgkmcnt(0)
	s_barrier
	global_load_dwordx4 v[2:5], v16, s[12:13] offset:96
	global_load_dwordx4 v[6:9], v16, s[12:13] offset:112
	ds_read_b128 v[10:13], v1 offset:432
	ds_read_b128 v[14:17], v24
	s_waitcnt vmcnt(1) lgkmcnt(1)
	v_mul_f64 v[18:19], v[12:13], v[4:5]
	v_mul_f64 v[4:5], v[10:11], v[4:5]
	v_fma_f64 v[18:19], v[10:11], v[2:3], v[18:19]
	v_fma_f64 v[10:11], v[12:13], v[2:3], -v[4:5]
	ds_read_b128 v[2:5], v1 offset:864
	s_waitcnt vmcnt(0) lgkmcnt(0)
	s_barrier
	v_mul_f64 v[12:13], v[4:5], v[8:9]
	v_fma_f64 v[12:13], v[2:3], v[6:7], v[12:13]
	v_mul_f64 v[2:3], v[2:3], v[8:9]
	v_fma_f64 v[2:3], v[4:5], v[6:7], -v[2:3]
	v_add_f64 v[4:5], v[18:19], v[12:13]
	v_add_f64 v[6:7], v[10:11], v[2:3]
	v_fma_f64 v[8:9], v[4:5], -0.5, v[14:15]
	v_add_f64 v[4:5], v[16:17], v[10:11]
	v_add_f64 v[10:11], v[10:11], -v[2:3]
	v_fma_f64 v[20:21], v[6:7], -0.5, v[16:17]
	v_add_f64 v[6:7], v[14:15], v[18:19]
	v_add_f64 v[14:15], v[18:19], -v[12:13]
	v_add_f64 v[4:5], v[4:5], v[2:3]
	v_mad_u32_u24 v16, v30, s3, 0
	s_mov_b32 s3, 0x1c71c71d
	v_add_f64 v[2:3], v[6:7], v[12:13]
	v_fma_f64 v[6:7], v[10:11], s[16:17], v[8:9]
	v_fma_f64 v[10:11], v[10:11], s[20:21], v[8:9]
	v_fma_f64 v[8:9], v[14:15], s[20:21], v[20:21]
	v_fma_f64 v[12:13], v[14:15], s[16:17], v[20:21]
	v_lshlrev_b32_sdwa v14, v29, v22 dst_sel:DWORD dst_unused:UNUSED_PAD src0_sel:DWORD src1_sel:BYTE_0
	v_add3_u32 v14, v16, v14, v23
	ds_write_b128 v14, v[2:5]
	ds_write_b128 v14, v[6:9] offset:144
	ds_write_b128 v14, v[10:13] offset:288
	s_waitcnt lgkmcnt(0)
	s_barrier
	global_load_dwordx4 v[2:5], v25, s[12:13] offset:384
	global_load_dwordx4 v[6:9], v25, s[12:13] offset:400
	ds_read_b128 v[10:13], v1 offset:432
	ds_read_b128 v[14:17], v24
	s_waitcnt vmcnt(1) lgkmcnt(1)
	v_mul_f64 v[18:19], v[12:13], v[4:5]
	v_mul_f64 v[4:5], v[10:11], v[4:5]
	v_fma_f64 v[10:11], v[10:11], v[2:3], v[18:19]
	v_fma_f64 v[12:13], v[12:13], v[2:3], -v[4:5]
	ds_read_b128 v[2:5], v1 offset:864
	s_waitcnt vmcnt(0) lgkmcnt(0)
	s_barrier
	v_mul_f64 v[18:19], v[4:5], v[8:9]
	v_mul_f64 v[8:9], v[2:3], v[8:9]
	v_add_f64 v[20:21], v[16:17], v[12:13]
	v_add_f64 v[22:23], v[14:15], v[10:11]
	v_fma_f64 v[18:19], v[2:3], v[6:7], v[18:19]
	v_fma_f64 v[3:4], v[4:5], v[6:7], -v[8:9]
	v_mul_hi_u32 v2, v0, s3
	s_mov_b32 s3, 0
	v_add_f64 v[5:6], v[10:11], v[18:19]
	v_add_f64 v[7:8], v[12:13], v[3:4]
	v_add_f64 v[12:13], v[12:13], -v[3:4]
	v_add_f64 v[24:25], v[10:11], -v[18:19]
	v_fma_f64 v[14:15], v[5:6], -0.5, v[14:15]
	v_fma_f64 v[16:17], v[7:8], -0.5, v[16:17]
	v_mul_u32_u24_e32 v5, 9, v2
	v_sub_u32_e32 v0, v0, v5
	v_add_f64 v[5:6], v[20:21], v[3:4]
	v_add_f64 v[3:4], v[22:23], v[18:19]
	v_fma_f64 v[7:8], v[12:13], s[16:17], v[14:15]
	v_fma_f64 v[9:10], v[24:25], s[20:21], v[16:17]
	;; [unrolled: 1-line block ×4, first 2 shown]
	v_add_u32_e32 v15, s7, v0
	v_cmp_gt_u32_e32 vcc, s2, v15
	s_or_b64 s[12:13], s[18:19], vcc
	ds_write_b128 v1, v[3:6]
	ds_write_b128 v1, v[7:10] offset:432
	ds_write_b128 v1, v[11:14] offset:864
	s_waitcnt lgkmcnt(0)
	s_barrier
	s_and_saveexec_b64 s[16:17], s[12:13]
	s_cbranch_execz .LBB0_13
; %bb.12:
	v_mad_u64_u32 v[4:5], s[12:13], s8, v0, 0
	s_load_dwordx2 s[4:5], s[4:5], 0x60
	s_mul_i32 s2, s6, s14
	s_mul_i32 s6, s9, s7
	s_mul_hi_u32 s11, s8, s7
	v_mov_b32_e32 v1, v5
	s_add_i32 s13, s11, s6
	s_mul_i32 s12, s8, s7
	v_mad_u64_u32 v[5:6], s[6:7], s9, v0, v[1:2]
	s_mul_i32 s1, s1, s30
	s_mul_hi_u32 s6, s0, s30
	s_add_i32 s1, s6, s1
	s_lshl_b64 s[6:7], s[12:13], 4
	s_waitcnt lgkmcnt(0)
	s_add_u32 s4, s4, s6
	s_addc_u32 s5, s5, s7
	s_lshl_b64 s[2:3], s[2:3], 4
	s_mul_i32 s0, s0, s30
	s_add_u32 s2, s4, s2
	v_mul_lo_u32 v8, v2, s10
	s_addc_u32 s3, s5, s3
	s_lshl_b64 s[0:1], s[0:1], 4
	v_mul_i32_i24_e32 v0, 0x510, v0
	v_lshlrev_b32_e32 v1, 4, v2
	s_add_u32 s0, s2, s0
	v_lshlrev_b64 v[4:5], 4, v[4:5]
	v_add3_u32 v12, 0, v0, v1
	s_addc_u32 s1, s3, s1
	v_mov_b32_e32 v9, 0
	ds_read_b128 v[0:3], v12
	v_mov_b32_e32 v6, s1
	v_add_co_u32_e32 v13, vcc, s0, v4
	v_addc_co_u32_e32 v14, vcc, v6, v5, vcc
	v_lshlrev_b64 v[4:5], 4, v[8:9]
	s_mul_i32 s0, s10, 27
	v_add_co_u32_e32 v10, vcc, v13, v4
	v_addc_co_u32_e32 v11, vcc, v14, v5, vcc
	ds_read_b128 v[4:7], v12 offset:432
	v_add_u32_e32 v8, s0, v8
	s_waitcnt lgkmcnt(1)
	global_store_dwordx4 v[10:11], v[0:3], off
	s_nop 0
	v_lshlrev_b64 v[0:1], 4, v[8:9]
	v_add_u32_e32 v8, s0, v8
	v_add_co_u32_e32 v0, vcc, v13, v0
	v_addc_co_u32_e32 v1, vcc, v14, v1, vcc
	s_waitcnt lgkmcnt(0)
	global_store_dwordx4 v[0:1], v[4:7], off
	ds_read_b128 v[0:3], v12 offset:864
	v_lshlrev_b64 v[4:5], 4, v[8:9]
	v_add_co_u32_e32 v4, vcc, v13, v4
	v_addc_co_u32_e32 v5, vcc, v14, v5, vcc
	s_waitcnt lgkmcnt(0)
	global_store_dwordx4 v[4:5], v[0:3], off
.LBB0_13:
	s_endpgm
	.section	.rodata,"a",@progbits
	.p2align	6, 0x0
	.amdhsa_kernel fft_rtc_back_len81_factors_3_3_3_3_wgs_243_tpt_27_dp_op_CI_CI_sbrc_xy_z_unaligned
		.amdhsa_group_segment_fixed_size 0
		.amdhsa_private_segment_fixed_size 0
		.amdhsa_kernarg_size 104
		.amdhsa_user_sgpr_count 6
		.amdhsa_user_sgpr_private_segment_buffer 1
		.amdhsa_user_sgpr_dispatch_ptr 0
		.amdhsa_user_sgpr_queue_ptr 0
		.amdhsa_user_sgpr_kernarg_segment_ptr 1
		.amdhsa_user_sgpr_dispatch_id 0
		.amdhsa_user_sgpr_flat_scratch_init 0
		.amdhsa_user_sgpr_private_segment_size 0
		.amdhsa_uses_dynamic_stack 0
		.amdhsa_system_sgpr_private_segment_wavefront_offset 0
		.amdhsa_system_sgpr_workgroup_id_x 1
		.amdhsa_system_sgpr_workgroup_id_y 0
		.amdhsa_system_sgpr_workgroup_id_z 0
		.amdhsa_system_sgpr_workgroup_info 0
		.amdhsa_system_vgpr_workitem_id 0
		.amdhsa_next_free_vgpr 31
		.amdhsa_next_free_sgpr 36
		.amdhsa_reserve_vcc 1
		.amdhsa_reserve_flat_scratch 0
		.amdhsa_float_round_mode_32 0
		.amdhsa_float_round_mode_16_64 0
		.amdhsa_float_denorm_mode_32 3
		.amdhsa_float_denorm_mode_16_64 3
		.amdhsa_dx10_clamp 1
		.amdhsa_ieee_mode 1
		.amdhsa_fp16_overflow 0
		.amdhsa_exception_fp_ieee_invalid_op 0
		.amdhsa_exception_fp_denorm_src 0
		.amdhsa_exception_fp_ieee_div_zero 0
		.amdhsa_exception_fp_ieee_overflow 0
		.amdhsa_exception_fp_ieee_underflow 0
		.amdhsa_exception_fp_ieee_inexact 0
		.amdhsa_exception_int_div_zero 0
	.end_amdhsa_kernel
	.text
.Lfunc_end0:
	.size	fft_rtc_back_len81_factors_3_3_3_3_wgs_243_tpt_27_dp_op_CI_CI_sbrc_xy_z_unaligned, .Lfunc_end0-fft_rtc_back_len81_factors_3_3_3_3_wgs_243_tpt_27_dp_op_CI_CI_sbrc_xy_z_unaligned
                                        ; -- End function
	.section	.AMDGPU.csdata,"",@progbits
; Kernel info:
; codeLenInByte = 2492
; NumSgprs: 40
; NumVgprs: 31
; ScratchSize: 0
; MemoryBound: 0
; FloatMode: 240
; IeeeMode: 1
; LDSByteSize: 0 bytes/workgroup (compile time only)
; SGPRBlocks: 4
; VGPRBlocks: 7
; NumSGPRsForWavesPerEU: 40
; NumVGPRsForWavesPerEU: 31
; Occupancy: 8
; WaveLimiterHint : 1
; COMPUTE_PGM_RSRC2:SCRATCH_EN: 0
; COMPUTE_PGM_RSRC2:USER_SGPR: 6
; COMPUTE_PGM_RSRC2:TRAP_HANDLER: 0
; COMPUTE_PGM_RSRC2:TGID_X_EN: 1
; COMPUTE_PGM_RSRC2:TGID_Y_EN: 0
; COMPUTE_PGM_RSRC2:TGID_Z_EN: 0
; COMPUTE_PGM_RSRC2:TIDIG_COMP_CNT: 0
	.type	__hip_cuid_91a22f5535fd397a,@object ; @__hip_cuid_91a22f5535fd397a
	.section	.bss,"aw",@nobits
	.globl	__hip_cuid_91a22f5535fd397a
__hip_cuid_91a22f5535fd397a:
	.byte	0                               ; 0x0
	.size	__hip_cuid_91a22f5535fd397a, 1

	.ident	"AMD clang version 19.0.0git (https://github.com/RadeonOpenCompute/llvm-project roc-6.4.0 25133 c7fe45cf4b819c5991fe208aaa96edf142730f1d)"
	.section	".note.GNU-stack","",@progbits
	.addrsig
	.addrsig_sym __hip_cuid_91a22f5535fd397a
	.amdgpu_metadata
---
amdhsa.kernels:
  - .args:
      - .actual_access:  read_only
        .address_space:  global
        .offset:         0
        .size:           8
        .value_kind:     global_buffer
      - .offset:         8
        .size:           8
        .value_kind:     by_value
      - .actual_access:  read_only
        .address_space:  global
        .offset:         16
        .size:           8
        .value_kind:     global_buffer
      - .actual_access:  read_only
        .address_space:  global
        .offset:         24
        .size:           8
        .value_kind:     global_buffer
      - .actual_access:  read_only
        .address_space:  global
        .offset:         32
        .size:           8
        .value_kind:     global_buffer
      - .offset:         40
        .size:           8
        .value_kind:     by_value
      - .actual_access:  read_only
        .address_space:  global
        .offset:         48
        .size:           8
        .value_kind:     global_buffer
      - .actual_access:  read_only
        .address_space:  global
        .offset:         56
        .size:           8
        .value_kind:     global_buffer
      - .offset:         64
        .size:           4
        .value_kind:     by_value
      - .actual_access:  read_only
        .address_space:  global
        .offset:         72
        .size:           8
        .value_kind:     global_buffer
      - .actual_access:  read_only
        .address_space:  global
        .offset:         80
        .size:           8
        .value_kind:     global_buffer
      - .actual_access:  read_only
        .address_space:  global
        .offset:         88
        .size:           8
        .value_kind:     global_buffer
      - .actual_access:  write_only
        .address_space:  global
        .offset:         96
        .size:           8
        .value_kind:     global_buffer
    .group_segment_fixed_size: 0
    .kernarg_segment_align: 8
    .kernarg_segment_size: 104
    .language:       OpenCL C
    .language_version:
      - 2
      - 0
    .max_flat_workgroup_size: 243
    .name:           fft_rtc_back_len81_factors_3_3_3_3_wgs_243_tpt_27_dp_op_CI_CI_sbrc_xy_z_unaligned
    .private_segment_fixed_size: 0
    .sgpr_count:     40
    .sgpr_spill_count: 0
    .symbol:         fft_rtc_back_len81_factors_3_3_3_3_wgs_243_tpt_27_dp_op_CI_CI_sbrc_xy_z_unaligned.kd
    .uniform_work_group_size: 1
    .uses_dynamic_stack: false
    .vgpr_count:     31
    .vgpr_spill_count: 0
    .wavefront_size: 64
amdhsa.target:   amdgcn-amd-amdhsa--gfx906
amdhsa.version:
  - 1
  - 2
...

	.end_amdgpu_metadata
